;; amdgpu-corpus repo=ROCm/rocFFT kind=compiled arch=gfx906 opt=O3
	.text
	.amdgcn_target "amdgcn-amd-amdhsa--gfx906"
	.amdhsa_code_object_version 6
	.protected	fft_rtc_back_len686_factors_7_7_7_2_wgs_49_tpt_49_half_op_CI_CI_unitstride_sbrr_C2R_dirReg ; -- Begin function fft_rtc_back_len686_factors_7_7_7_2_wgs_49_tpt_49_half_op_CI_CI_unitstride_sbrr_C2R_dirReg
	.globl	fft_rtc_back_len686_factors_7_7_7_2_wgs_49_tpt_49_half_op_CI_CI_unitstride_sbrr_C2R_dirReg
	.p2align	8
	.type	fft_rtc_back_len686_factors_7_7_7_2_wgs_49_tpt_49_half_op_CI_CI_unitstride_sbrr_C2R_dirReg,@function
fft_rtc_back_len686_factors_7_7_7_2_wgs_49_tpt_49_half_op_CI_CI_unitstride_sbrr_C2R_dirReg: ; @fft_rtc_back_len686_factors_7_7_7_2_wgs_49_tpt_49_half_op_CI_CI_unitstride_sbrr_C2R_dirReg
; %bb.0:
	s_load_dwordx4 s[8:11], s[4:5], 0x58
	s_load_dwordx4 s[12:15], s[4:5], 0x0
	;; [unrolled: 1-line block ×3, first 2 shown]
	v_mul_u32_u24_e32 v1, 0x53a, v0
	v_mov_b32_e32 v3, 0
	v_mov_b32_e32 v7, 0
	s_waitcnt lgkmcnt(0)
	v_cmp_lt_u64_e64 s[0:1], s[14:15], 2
	v_add_u32_sdwa v9, s6, v1 dst_sel:DWORD dst_unused:UNUSED_PAD src0_sel:DWORD src1_sel:WORD_1
	v_mov_b32_e32 v10, v3
	s_and_b64 vcc, exec, s[0:1]
	v_mov_b32_e32 v8, 0
	s_cbranch_vccnz .LBB0_8
; %bb.1:
	s_load_dwordx2 s[0:1], s[4:5], 0x10
	s_add_u32 s2, s18, 8
	s_addc_u32 s3, s19, 0
	s_add_u32 s6, s16, 8
	s_addc_u32 s7, s17, 0
	v_mov_b32_e32 v7, 0
	s_waitcnt lgkmcnt(0)
	s_add_u32 s20, s0, 8
	v_mov_b32_e32 v8, 0
	v_mov_b32_e32 v1, v7
	s_addc_u32 s21, s1, 0
	s_mov_b64 s[22:23], 1
	v_mov_b32_e32 v2, v8
.LBB0_2:                                ; =>This Inner Loop Header: Depth=1
	s_load_dwordx2 s[24:25], s[20:21], 0x0
                                        ; implicit-def: $vgpr5_vgpr6
	s_waitcnt lgkmcnt(0)
	v_or_b32_e32 v4, s25, v10
	v_cmp_ne_u64_e32 vcc, 0, v[3:4]
	s_and_saveexec_b64 s[0:1], vcc
	s_xor_b64 s[26:27], exec, s[0:1]
	s_cbranch_execz .LBB0_4
; %bb.3:                                ;   in Loop: Header=BB0_2 Depth=1
	v_cvt_f32_u32_e32 v4, s24
	v_cvt_f32_u32_e32 v5, s25
	s_sub_u32 s0, 0, s24
	s_subb_u32 s1, 0, s25
	v_mac_f32_e32 v4, 0x4f800000, v5
	v_rcp_f32_e32 v4, v4
	v_mul_f32_e32 v4, 0x5f7ffffc, v4
	v_mul_f32_e32 v5, 0x2f800000, v4
	v_trunc_f32_e32 v5, v5
	v_mac_f32_e32 v4, 0xcf800000, v5
	v_cvt_u32_f32_e32 v5, v5
	v_cvt_u32_f32_e32 v4, v4
	v_mul_lo_u32 v6, s0, v5
	v_mul_hi_u32 v11, s0, v4
	v_mul_lo_u32 v13, s1, v4
	v_mul_lo_u32 v12, s0, v4
	v_add_u32_e32 v6, v11, v6
	v_add_u32_e32 v6, v6, v13
	v_mul_hi_u32 v11, v4, v12
	v_mul_lo_u32 v13, v4, v6
	v_mul_hi_u32 v15, v4, v6
	v_mul_hi_u32 v14, v5, v12
	v_mul_lo_u32 v12, v5, v12
	v_mul_hi_u32 v16, v5, v6
	v_add_co_u32_e32 v11, vcc, v11, v13
	v_addc_co_u32_e32 v13, vcc, 0, v15, vcc
	v_mul_lo_u32 v6, v5, v6
	v_add_co_u32_e32 v11, vcc, v11, v12
	v_addc_co_u32_e32 v11, vcc, v13, v14, vcc
	v_addc_co_u32_e32 v12, vcc, 0, v16, vcc
	v_add_co_u32_e32 v6, vcc, v11, v6
	v_addc_co_u32_e32 v11, vcc, 0, v12, vcc
	v_add_co_u32_e32 v4, vcc, v4, v6
	v_addc_co_u32_e32 v5, vcc, v5, v11, vcc
	v_mul_lo_u32 v6, s0, v5
	v_mul_hi_u32 v11, s0, v4
	v_mul_lo_u32 v12, s1, v4
	v_mul_lo_u32 v13, s0, v4
	v_add_u32_e32 v6, v11, v6
	v_add_u32_e32 v6, v6, v12
	v_mul_lo_u32 v14, v4, v6
	v_mul_hi_u32 v15, v4, v13
	v_mul_hi_u32 v16, v4, v6
	v_mul_hi_u32 v12, v5, v13
	v_mul_lo_u32 v13, v5, v13
	v_mul_hi_u32 v11, v5, v6
	v_add_co_u32_e32 v14, vcc, v15, v14
	v_addc_co_u32_e32 v15, vcc, 0, v16, vcc
	v_mul_lo_u32 v6, v5, v6
	v_add_co_u32_e32 v13, vcc, v14, v13
	v_addc_co_u32_e32 v12, vcc, v15, v12, vcc
	v_addc_co_u32_e32 v11, vcc, 0, v11, vcc
	v_add_co_u32_e32 v6, vcc, v12, v6
	v_addc_co_u32_e32 v11, vcc, 0, v11, vcc
	v_add_co_u32_e32 v6, vcc, v4, v6
	v_addc_co_u32_e32 v11, vcc, v5, v11, vcc
	v_mad_u64_u32 v[4:5], s[0:1], v9, v11, 0
	v_mul_hi_u32 v12, v9, v6
	v_add_co_u32_e32 v13, vcc, v12, v4
	v_addc_co_u32_e32 v14, vcc, 0, v5, vcc
	v_mad_u64_u32 v[4:5], s[0:1], v10, v6, 0
	v_mad_u64_u32 v[11:12], s[0:1], v10, v11, 0
	v_add_co_u32_e32 v4, vcc, v13, v4
	v_addc_co_u32_e32 v4, vcc, v14, v5, vcc
	v_addc_co_u32_e32 v5, vcc, 0, v12, vcc
	v_add_co_u32_e32 v11, vcc, v4, v11
	v_addc_co_u32_e32 v6, vcc, 0, v5, vcc
	v_mul_lo_u32 v12, s25, v11
	v_mul_lo_u32 v13, s24, v6
	v_mad_u64_u32 v[4:5], s[0:1], s24, v11, 0
	v_add3_u32 v5, v5, v13, v12
	v_sub_u32_e32 v12, v10, v5
	v_mov_b32_e32 v13, s25
	v_sub_co_u32_e32 v4, vcc, v9, v4
	v_subb_co_u32_e64 v12, s[0:1], v12, v13, vcc
	v_subrev_co_u32_e64 v13, s[0:1], s24, v4
	v_subbrev_co_u32_e64 v12, s[0:1], 0, v12, s[0:1]
	v_cmp_le_u32_e64 s[0:1], s25, v12
	v_cndmask_b32_e64 v14, 0, -1, s[0:1]
	v_cmp_le_u32_e64 s[0:1], s24, v13
	v_cndmask_b32_e64 v13, 0, -1, s[0:1]
	v_cmp_eq_u32_e64 s[0:1], s25, v12
	v_cndmask_b32_e64 v12, v14, v13, s[0:1]
	v_add_co_u32_e64 v13, s[0:1], 2, v11
	v_addc_co_u32_e64 v14, s[0:1], 0, v6, s[0:1]
	v_add_co_u32_e64 v15, s[0:1], 1, v11
	v_addc_co_u32_e64 v16, s[0:1], 0, v6, s[0:1]
	v_subb_co_u32_e32 v5, vcc, v10, v5, vcc
	v_cmp_ne_u32_e64 s[0:1], 0, v12
	v_cmp_le_u32_e32 vcc, s25, v5
	v_cndmask_b32_e64 v12, v16, v14, s[0:1]
	v_cndmask_b32_e64 v14, 0, -1, vcc
	v_cmp_le_u32_e32 vcc, s24, v4
	v_cndmask_b32_e64 v4, 0, -1, vcc
	v_cmp_eq_u32_e32 vcc, s25, v5
	v_cndmask_b32_e32 v4, v14, v4, vcc
	v_cmp_ne_u32_e32 vcc, 0, v4
	v_cndmask_b32_e64 v4, v15, v13, s[0:1]
	v_cndmask_b32_e32 v6, v6, v12, vcc
	v_cndmask_b32_e32 v5, v11, v4, vcc
.LBB0_4:                                ;   in Loop: Header=BB0_2 Depth=1
	s_andn2_saveexec_b64 s[0:1], s[26:27]
	s_cbranch_execz .LBB0_6
; %bb.5:                                ;   in Loop: Header=BB0_2 Depth=1
	v_cvt_f32_u32_e32 v4, s24
	s_sub_i32 s26, 0, s24
	v_rcp_iflag_f32_e32 v4, v4
	v_mul_f32_e32 v4, 0x4f7ffffe, v4
	v_cvt_u32_f32_e32 v4, v4
	v_mul_lo_u32 v5, s26, v4
	v_mul_hi_u32 v5, v4, v5
	v_add_u32_e32 v4, v4, v5
	v_mul_hi_u32 v4, v9, v4
	v_mul_lo_u32 v5, v4, s24
	v_add_u32_e32 v6, 1, v4
	v_sub_u32_e32 v5, v9, v5
	v_subrev_u32_e32 v11, s24, v5
	v_cmp_le_u32_e32 vcc, s24, v5
	v_cndmask_b32_e32 v5, v5, v11, vcc
	v_cndmask_b32_e32 v4, v4, v6, vcc
	v_add_u32_e32 v6, 1, v4
	v_cmp_le_u32_e32 vcc, s24, v5
	v_cndmask_b32_e32 v5, v4, v6, vcc
	v_mov_b32_e32 v6, v3
.LBB0_6:                                ;   in Loop: Header=BB0_2 Depth=1
	s_or_b64 exec, exec, s[0:1]
	v_mul_lo_u32 v4, v6, s24
	v_mul_lo_u32 v13, v5, s25
	v_mad_u64_u32 v[11:12], s[0:1], v5, s24, 0
	s_load_dwordx2 s[0:1], s[6:7], 0x0
	s_load_dwordx2 s[24:25], s[2:3], 0x0
	v_add3_u32 v4, v12, v13, v4
	v_sub_co_u32_e32 v9, vcc, v9, v11
	v_subb_co_u32_e32 v4, vcc, v10, v4, vcc
	s_waitcnt lgkmcnt(0)
	v_mul_lo_u32 v10, s0, v4
	v_mul_lo_u32 v11, s1, v9
	v_mad_u64_u32 v[7:8], s[0:1], s0, v9, v[7:8]
	s_add_u32 s22, s22, 1
	s_addc_u32 s23, s23, 0
	s_add_u32 s2, s2, 8
	v_mul_lo_u32 v4, s24, v4
	v_mul_lo_u32 v12, s25, v9
	v_mad_u64_u32 v[1:2], s[0:1], s24, v9, v[1:2]
	v_add3_u32 v8, v11, v8, v10
	s_addc_u32 s3, s3, 0
	v_mov_b32_e32 v9, s14
	s_add_u32 s6, s6, 8
	v_mov_b32_e32 v10, s15
	s_addc_u32 s7, s7, 0
	v_cmp_ge_u64_e32 vcc, s[22:23], v[9:10]
	s_add_u32 s20, s20, 8
	v_add3_u32 v2, v12, v2, v4
	s_addc_u32 s21, s21, 0
	s_cbranch_vccnz .LBB0_9
; %bb.7:                                ;   in Loop: Header=BB0_2 Depth=1
	v_mov_b32_e32 v10, v6
	v_mov_b32_e32 v9, v5
	s_branch .LBB0_2
.LBB0_8:
	v_mov_b32_e32 v1, v7
	v_mov_b32_e32 v5, v9
	;; [unrolled: 1-line block ×4, first 2 shown]
.LBB0_9:
	s_load_dwordx2 s[0:1], s[4:5], 0x28
	s_lshl_b64 s[6:7], s[14:15], 3
	s_add_u32 s2, s18, s6
	s_addc_u32 s3, s19, s7
                                        ; implicit-def: $vgpr3
                                        ; implicit-def: $vgpr9_vgpr10
	s_waitcnt lgkmcnt(0)
	v_cmp_gt_u64_e32 vcc, s[0:1], v[5:6]
	v_cmp_le_u64_e64 s[0:1], s[0:1], v[5:6]
	s_and_saveexec_b64 s[4:5], s[0:1]
	s_xor_b64 s[0:1], exec, s[4:5]
; %bb.10:
	s_mov_b32 s4, 0x539782a
	v_mul_hi_u32 v3, v0, s4
	v_mov_b32_e32 v4, 0
                                        ; implicit-def: $vgpr7_vgpr8
	v_mul_u32_u24_e32 v3, 49, v3
	v_sub_u32_e32 v3, v0, v3
	v_mov_b32_e32 v10, v4
	v_mov_b32_e32 v9, v3
                                        ; implicit-def: $vgpr0
; %bb.11:
	s_or_saveexec_b64 s[4:5], s[0:1]
	s_load_dwordx2 s[2:3], s[2:3], 0x0
	s_xor_b64 exec, exec, s[4:5]
	s_cbranch_execz .LBB0_15
; %bb.12:
	s_add_u32 s0, s16, s6
	s_addc_u32 s1, s17, s7
	s_load_dwordx2 s[0:1], s[0:1], 0x0
	s_mov_b32 s6, 0x539782a
	v_mul_hi_u32 v3, v0, s6
	v_lshlrev_b64 v[7:8], 2, v[7:8]
	s_waitcnt lgkmcnt(0)
	v_mul_lo_u32 v4, s1, v5
	v_mul_lo_u32 v11, s0, v6
	v_mad_u64_u32 v[9:10], s[0:1], s0, v5, 0
	v_mul_u32_u24_e32 v3, 49, v3
	v_sub_u32_e32 v3, v0, v3
	v_add3_u32 v10, v10, v11, v4
	v_lshlrev_b64 v[9:10], 2, v[9:10]
	v_mov_b32_e32 v0, s9
	v_add_co_u32_e64 v4, s[0:1], s8, v9
	v_addc_co_u32_e64 v0, s[0:1], v0, v10, s[0:1]
	v_add_co_u32_e64 v7, s[0:1], v4, v7
	v_addc_co_u32_e64 v8, s[0:1], v0, v8, s[0:1]
	v_lshlrev_b32_e32 v0, 2, v3
	v_add_co_u32_e64 v9, s[0:1], v7, v0
	v_addc_co_u32_e64 v10, s[0:1], 0, v8, s[0:1]
	global_load_dword v11, v[9:10], off
	global_load_dword v12, v[9:10], off offset:196
	global_load_dword v13, v[9:10], off offset:392
	;; [unrolled: 1-line block ×13, first 2 shown]
	v_add_u32_e32 v0, 0, v0
	v_mov_b32_e32 v4, 0
	v_add_u32_e32 v9, 0x400, v0
	v_add_u32_e32 v10, 0x600, v0
	;; [unrolled: 1-line block ×3, first 2 shown]
	v_cmp_eq_u32_e64 s[0:1], 48, v3
	s_waitcnt vmcnt(12)
	ds_write2_b32 v0, v11, v12 offset1:49
	s_waitcnt vmcnt(10)
	ds_write2_b32 v0, v13, v14 offset0:98 offset1:147
	s_waitcnt vmcnt(8)
	ds_write2_b32 v0, v15, v16 offset0:196 offset1:245
	;; [unrolled: 2-line block ×6, first 2 shown]
	v_mov_b32_e32 v10, v4
	v_mov_b32_e32 v9, v3
	s_and_saveexec_b64 s[6:7], s[0:1]
	s_cbranch_execz .LBB0_14
; %bb.13:
	global_load_dword v0, v[7:8], off offset:2744
	v_mov_b32_e32 v9, 48
	v_mov_b32_e32 v10, 0
	;; [unrolled: 1-line block ×3, first 2 shown]
	s_waitcnt vmcnt(0)
	ds_write_b32 v4, v0 offset:2744
.LBB0_14:
	s_or_b64 exec, exec, s[6:7]
.LBB0_15:
	s_or_b64 exec, exec, s[4:5]
	v_lshlrev_b32_e32 v4, 2, v3
	v_add_u32_e32 v0, 0, v4
	s_waitcnt lgkmcnt(0)
	; wave barrier
	s_waitcnt lgkmcnt(0)
	v_sub_u32_e32 v12, 0, v4
	ds_read_u16 v4, v0
	ds_read_u16 v14, v12 offset:2744
	v_lshlrev_b64 v[7:8], 2, v[9:10]
	v_cmp_ne_u32_e64 s[0:1], 0, v3
	s_waitcnt lgkmcnt(0)
	v_add_f16_e32 v11, v14, v4
	v_sub_f16_e32 v13, v4, v14
	s_and_saveexec_b64 s[4:5], s[0:1]
	s_xor_b64 s[4:5], exec, s[4:5]
	s_cbranch_execz .LBB0_17
; %bb.16:
	v_mov_b32_e32 v10, s13
	v_add_co_u32_e64 v9, s[0:1], s12, v7
	v_addc_co_u32_e64 v10, s[0:1], v10, v8, s[0:1]
	global_load_dword v9, v[9:10], off offset:2716
	ds_read_u16 v10, v12 offset:2746
	ds_read_u16 v11, v0 offset:2
	v_add_f16_e32 v13, v14, v4
	v_sub_f16_e32 v4, v4, v14
	s_waitcnt lgkmcnt(0)
	v_add_f16_e32 v14, v10, v11
	v_sub_f16_e32 v10, v11, v10
	s_waitcnt vmcnt(0)
	v_lshrrev_b32_e32 v11, 16, v9
	v_fma_f16 v15, v4, v11, v13
	v_fma_f16 v16, v14, v11, v10
	v_fma_f16 v17, -v4, v11, v13
	v_fma_f16 v10, v14, v11, -v10
	v_fma_f16 v11, -v9, v14, v15
	v_fma_f16 v13, v4, v9, v16
	v_fma_f16 v14, v9, v14, v17
	;; [unrolled: 1-line block ×3, first 2 shown]
	v_pack_b32_f16 v4, v14, v4
	ds_write_b32 v12, v4 offset:2744
.LBB0_17:
	s_andn2_saveexec_b64 s[0:1], s[4:5]
	s_cbranch_execz .LBB0_19
; %bb.18:
	v_mov_b32_e32 v4, 0
	ds_read_b32 v9, v4 offset:1372
	s_mov_b32 s4, 0xc0004000
	s_waitcnt lgkmcnt(0)
	v_pk_mul_f16 v9, v9, s4
	ds_write_b32 v4, v9 offset:1372
.LBB0_19:
	s_or_b64 exec, exec, s[0:1]
	v_mov_b32_e32 v4, 0
	s_add_u32 s0, s12, 0xa9c
	v_lshlrev_b64 v[9:10], 2, v[3:4]
	s_addc_u32 s1, s13, 0
	v_mov_b32_e32 v15, s1
	v_add_co_u32_e64 v14, s[0:1], s0, v9
	v_addc_co_u32_e64 v15, s[0:1], v15, v10, s[0:1]
	global_load_dword v16, v[14:15], off offset:196
	global_load_dword v17, v[14:15], off offset:392
	;; [unrolled: 1-line block ×4, first 2 shown]
	s_mov_b32 s0, 0x5040100
	v_perm_b32 v11, v13, v11, s0
	ds_write_b32 v0, v11
	ds_read_b32 v11, v0 offset:196
	ds_read_b32 v13, v12 offset:2548
	global_load_dword v20, v[14:15], off offset:980
	global_load_dword v21, v[14:15], off offset:1176
	s_movk_i32 s8, 0x3a52
	s_movk_i32 s6, 0x39e0
	s_mov_b32 s5, 0xbb00
	s_waitcnt lgkmcnt(0)
	v_add_f16_e32 v14, v11, v13
	v_add_f16_sdwa v15, v13, v11 dst_sel:DWORD dst_unused:UNUSED_PAD src0_sel:WORD_1 src1_sel:WORD_1
	v_sub_f16_e32 v22, v11, v13
	v_sub_f16_sdwa v11, v11, v13 dst_sel:DWORD dst_unused:UNUSED_PAD src0_sel:WORD_1 src1_sel:WORD_1
	s_mov_b32 s1, 0xb574
	s_movk_i32 s9, 0x3cab
	s_movk_i32 s7, 0x2b26
	;; [unrolled: 1-line block ×3, first 2 shown]
	s_mov_b32 s0, 0xb70e
	s_mov_b32 s4, 0xffff
	s_waitcnt vmcnt(5)
	v_lshrrev_b32_e32 v13, 16, v16
	v_fma_f16 v23, v22, v13, v14
	v_fma_f16 v24, v15, v13, v11
	v_fma_f16 v14, -v22, v13, v14
	v_fma_f16 v11, v15, v13, -v11
	v_fma_f16 v13, -v16, v15, v23
	v_fma_f16 v23, v22, v16, v24
	v_fma_f16 v14, v16, v15, v14
	v_fma_f16 v11, v22, v16, v11
	v_pack_b32_f16 v13, v13, v23
	v_pack_b32_f16 v11, v14, v11
	ds_write_b32 v0, v13 offset:196
	ds_write_b32 v12, v11 offset:2548
	ds_read_b32 v11, v0 offset:392
	ds_read_b32 v13, v12 offset:2352
	s_waitcnt vmcnt(4)
	v_lshrrev_b32_e32 v14, 16, v17
	s_waitcnt lgkmcnt(0)
	v_add_f16_e32 v15, v11, v13
	v_add_f16_sdwa v16, v13, v11 dst_sel:DWORD dst_unused:UNUSED_PAD src0_sel:WORD_1 src1_sel:WORD_1
	v_sub_f16_e32 v22, v11, v13
	v_sub_f16_sdwa v11, v11, v13 dst_sel:DWORD dst_unused:UNUSED_PAD src0_sel:WORD_1 src1_sel:WORD_1
	v_fma_f16 v13, v22, v14, v15
	v_fma_f16 v23, v16, v14, v11
	v_fma_f16 v15, -v22, v14, v15
	v_fma_f16 v11, v16, v14, -v11
	v_fma_f16 v13, -v17, v16, v13
	v_fma_f16 v14, v22, v17, v23
	v_fma_f16 v15, v17, v16, v15
	v_fma_f16 v11, v22, v17, v11
	v_pack_b32_f16 v13, v13, v14
	v_pack_b32_f16 v11, v15, v11
	ds_write_b32 v0, v13 offset:392
	ds_write_b32 v12, v11 offset:2352
	ds_read_b32 v11, v0 offset:588
	ds_read_b32 v13, v12 offset:2156
	s_waitcnt vmcnt(3)
	v_lshrrev_b32_e32 v14, 16, v18
	s_waitcnt lgkmcnt(0)
	v_add_f16_e32 v15, v11, v13
	v_add_f16_sdwa v16, v13, v11 dst_sel:DWORD dst_unused:UNUSED_PAD src0_sel:WORD_1 src1_sel:WORD_1
	v_sub_f16_e32 v17, v11, v13
	v_sub_f16_sdwa v11, v11, v13 dst_sel:DWORD dst_unused:UNUSED_PAD src0_sel:WORD_1 src1_sel:WORD_1
	;; [unrolled: 21-line block ×4, first 2 shown]
	v_fma_f16 v13, v17, v14, v15
	v_fma_f16 v18, v16, v14, v11
	v_fma_f16 v15, -v17, v14, v15
	v_fma_f16 v11, v16, v14, -v11
	v_fma_f16 v13, -v20, v16, v13
	v_fma_f16 v14, v17, v20, v18
	v_fma_f16 v15, v20, v16, v15
	;; [unrolled: 1-line block ×3, first 2 shown]
	v_pack_b32_f16 v13, v13, v14
	v_pack_b32_f16 v11, v15, v11
	ds_write_b32 v0, v13 offset:980
	ds_write_b32 v12, v11 offset:1764
	ds_read_b32 v13, v0 offset:1176
	ds_read_b32 v14, v12 offset:1568
	s_waitcnt vmcnt(0)
	v_lshrrev_b32_e32 v15, 16, v21
	v_add_u32_e32 v11, 0x800, v0
	s_waitcnt lgkmcnt(0)
	v_add_f16_e32 v16, v13, v14
	v_add_f16_sdwa v17, v14, v13 dst_sel:DWORD dst_unused:UNUSED_PAD src0_sel:WORD_1 src1_sel:WORD_1
	v_sub_f16_e32 v18, v13, v14
	v_sub_f16_sdwa v13, v13, v14 dst_sel:DWORD dst_unused:UNUSED_PAD src0_sel:WORD_1 src1_sel:WORD_1
	v_fma_f16 v14, v18, v15, v16
	v_fma_f16 v19, v17, v15, v13
	v_fma_f16 v16, -v18, v15, v16
	v_fma_f16 v13, v17, v15, -v13
	v_fma_f16 v14, -v21, v17, v14
	v_fma_f16 v15, v18, v21, v19
	v_fma_f16 v16, v21, v17, v16
	;; [unrolled: 1-line block ×3, first 2 shown]
	v_pack_b32_f16 v14, v14, v15
	v_pack_b32_f16 v13, v16, v13
	ds_write_b32 v0, v14 offset:1176
	ds_write_b32 v12, v13 offset:1568
	s_waitcnt lgkmcnt(0)
	; wave barrier
	s_waitcnt lgkmcnt(0)
	s_waitcnt lgkmcnt(0)
	; wave barrier
	s_waitcnt lgkmcnt(0)
	ds_read2_b32 v[13:14], v0 offset0:98 offset1:147
	ds_read2_b32 v[15:16], v11 offset0:76 offset1:125
	v_add_u32_e32 v12, 0x600, v0
	ds_read2_b32 v[17:18], v0 offset0:196 offset1:245
	ds_read2_b32 v[19:20], v12 offset0:106 offset1:155
	s_waitcnt lgkmcnt(2)
	v_pk_add_f16 v23, v13, v15
	v_pk_add_f16 v24, v13, v15 neg_lo:[0,1] neg_hi:[0,1]
	v_add_u32_e32 v13, 0x400, v0
	v_pk_add_f16 v25, v14, v16
	v_pk_add_f16 v16, v14, v16 neg_lo:[0,1] neg_hi:[0,1]
	ds_read2_b32 v[14:15], v13 offset0:38 offset1:87
	ds_read2_b32 v[21:22], v13 offset0:136 offset1:185
	s_waitcnt lgkmcnt(2)
	v_pk_add_f16 v26, v17, v19
	v_pk_add_f16 v17, v17, v19 neg_lo:[0,1] neg_hi:[0,1]
	v_pk_add_f16 v19, v18, v20
	v_pk_add_f16 v18, v18, v20 neg_lo:[0,1] neg_hi:[0,1]
	s_waitcnt lgkmcnt(0)
	v_pk_add_f16 v20, v14, v21
	v_pk_add_f16 v21, v21, v14 neg_lo:[0,1] neg_hi:[0,1]
	v_pk_add_f16 v27, v15, v22
	v_pk_add_f16 v22, v22, v15 neg_lo:[0,1] neg_hi:[0,1]
	v_pk_add_f16 v14, v19, v25
	v_pk_add_f16 v28, v27, v14
	v_pk_add_f16 v14, v22, v18
	v_pk_add_f16 v30, v14, v16
	ds_read2_b32 v[14:15], v0 offset1:49
	v_pk_add_f16 v29, v19, v25 neg_lo:[0,1] neg_hi:[0,1]
	v_pk_add_f16 v25, v25, v27 neg_lo:[0,1] neg_hi:[0,1]
	;; [unrolled: 1-line block ×4, first 2 shown]
	v_pk_mul_f16 v25, v25, s8 op_sel_hi:[1,0]
	v_pk_mul_f16 v29, v29, s6 op_sel_hi:[1,0]
	;; [unrolled: 1-line block ×3, first 2 shown]
	s_waitcnt lgkmcnt(0)
	v_pk_add_f16 v15, v15, v28
	v_pk_add_f16 v19, v27, v19 neg_lo:[0,1] neg_hi:[0,1]
	v_pk_add_f16 v18, v22, v18 neg_lo:[0,1] neg_hi:[0,1]
	v_pk_fma_f16 v28, v28, s9, v15 op_sel_hi:[1,0,1] neg_lo:[1,0,0] neg_hi:[1,0,0]
	v_pk_add_f16 v32, v25, v29 op_sel:[1,1] op_sel_hi:[0,0] neg_lo:[1,1] neg_hi:[1,1]
	v_pk_fma_f16 v33, v31, s1, v16 op_sel_hi:[1,0,1] neg_lo:[1,0,1] neg_hi:[1,0,1]
	v_pk_fma_f16 v22, v19, s7, v29 op_sel_hi:[1,0,1] neg_lo:[1,0,0] neg_hi:[1,0,0]
	;; [unrolled: 1-line block ×3, first 2 shown]
	v_pk_add_f16 v32, v32, v28 op_sel:[0,1] op_sel_hi:[1,0]
	v_pk_fma_f16 v33, v30, s0, v33 op_sel_hi:[1,0,1]
	v_pk_add_f16 v22, v22, v28
	v_pk_fma_f16 v16, v30, s0, v16 op_sel_hi:[1,0,1]
	v_pk_add_f16 v34, v32, v33
	v_pk_add_f16 v32, v32, v33 neg_lo:[0,1] neg_hi:[0,1]
	v_pk_add_f16 v27, v22, v16 op_sel:[0,1] op_sel_hi:[1,0] neg_lo:[0,1] neg_hi:[0,1]
	v_pk_add_f16 v16, v22, v16 op_sel:[0,1] op_sel_hi:[1,0]
	v_mad_u32_u24 v22, v3, 24, v0
	v_add_u32_e32 v29, 0x564, v22
	v_alignbit_b32 v33, v32, v34, 16
	v_bfi_b32 v35, s4, v27, v16
	s_waitcnt lgkmcnt(0)
	; wave barrier
	ds_write2_b32 v29, v33, v35 offset1:1
	v_bfi_b32 v16, s4, v16, v27
	v_alignbit_b32 v27, v34, v32, 16
	v_add_u32_e32 v29, 0x56c, v22
	ds_write2_b32 v29, v16, v27 offset1:1
	v_pk_add_f16 v16, v26, v23
	v_pk_add_f16 v29, v21, v17
	;; [unrolled: 1-line block ×3, first 2 shown]
	v_pk_add_f16 v27, v26, v23 neg_lo:[0,1] neg_hi:[0,1]
	v_pk_add_f16 v23, v23, v20 neg_lo:[0,1] neg_hi:[0,1]
	v_pk_add_f16 v29, v29, v24
	v_pk_add_f16 v32, v24, v21 neg_lo:[0,1] neg_hi:[0,1]
	v_pk_add_f16 v24, v17, v24 neg_lo:[0,1] neg_hi:[0,1]
	v_pk_add_f16 v14, v14, v16
	v_pk_mul_f16 v23, v23, s8 op_sel_hi:[1,0]
	v_pk_mul_f16 v27, v27, s6 op_sel_hi:[1,0]
	;; [unrolled: 1-line block ×3, first 2 shown]
	v_pk_add_f16 v20, v20, v26 neg_lo:[0,1] neg_hi:[0,1]
	v_pk_add_f16 v17, v21, v17 neg_lo:[0,1] neg_hi:[0,1]
	v_pk_fma_f16 v16, v16, s9, v14 op_sel_hi:[1,0,1] neg_lo:[1,0,0] neg_hi:[1,0,0]
	v_pk_add_f16 v33, v23, v27 op_sel:[1,1] op_sel_hi:[0,0] neg_lo:[1,1] neg_hi:[1,1]
	v_pk_fma_f16 v34, v32, s1, v24 op_sel_hi:[1,0,1] neg_lo:[1,0,1] neg_hi:[1,0,1]
	v_pk_fma_f16 v21, v20, s7, v27 op_sel_hi:[1,0,1] neg_lo:[1,0,0] neg_hi:[1,0,0]
	v_pk_fma_f16 v24, v17, s14, v24 op_sel_hi:[1,0,1] neg_lo:[1,0,0] neg_hi:[1,0,0]
	v_pk_add_f16 v33, v33, v16 op_sel:[0,1] op_sel_hi:[1,0]
	v_pk_fma_f16 v34, v29, s0, v34 op_sel_hi:[1,0,1]
	v_pk_add_f16 v21, v21, v16
	v_pk_fma_f16 v24, v29, s0, v24 op_sel_hi:[1,0,1]
	v_pk_add_f16 v35, v33, v34
	v_pk_add_f16 v33, v33, v34 neg_lo:[0,1] neg_hi:[0,1]
	v_pk_add_f16 v26, v21, v24 op_sel:[0,1] op_sel_hi:[1,0] neg_lo:[0,1] neg_hi:[0,1]
	v_pk_add_f16 v21, v21, v24 op_sel:[0,1] op_sel_hi:[1,0]
	v_alignbit_b32 v24, v33, v35, 16
	v_bfi_b32 v27, s4, v26, v21
	ds_write2_b32 v22, v24, v27 offset0:2 offset1:3
	v_bfi_b32 v21, s4, v21, v26
	v_alignbit_b32 v24, v35, v33, 16
	ds_write2_b32 v22, v21, v24 offset0:4 offset1:5
	v_pk_mul_f16 v21, v32, s1 op_sel_hi:[1,0]
	v_pk_fma_f16 v20, v20, s7, v23 op_sel_hi:[1,0,1]
	v_pk_fma_f16 v17, v17, s14, v21 op_sel_hi:[1,0,1]
	v_pk_add_f16 v16, v20, v16
	v_pk_fma_f16 v17, v29, s0, v17 op_sel_hi:[1,0,1]
	v_pk_add_f16 v20, v16, v17 op_sel:[0,1] op_sel_hi:[1,0]
	v_pk_add_f16 v16, v16, v17 op_sel:[0,1] op_sel_hi:[1,0] neg_lo:[0,1] neg_hi:[0,1]
	v_bfi_b32 v17, s4, v20, v16
	ds_write2_b32 v22, v14, v17 offset1:1
	v_bfi_b32 v14, s4, v16, v20
	ds_write_b32 v22, v14 offset:24
	v_pk_mul_f16 v14, v31, s1 op_sel_hi:[1,0]
	v_pk_fma_f16 v17, v19, s7, v25 op_sel_hi:[1,0,1]
	v_pk_fma_f16 v14, v18, s14, v14 op_sel_hi:[1,0,1]
	v_pk_add_f16 v17, v17, v28
	v_pk_fma_f16 v14, v30, s0, v14 op_sel_hi:[1,0,1]
	v_pk_add_f16 v18, v17, v14 op_sel:[0,1] op_sel_hi:[1,0]
	v_pk_add_f16 v14, v17, v14 op_sel:[0,1] op_sel_hi:[1,0] neg_lo:[0,1] neg_hi:[0,1]
	v_add_u32_e32 v16, 0x55c, v22
	v_bfi_b32 v17, s4, v14, v18
	v_bfi_b32 v14, s4, v18, v14
	v_mov_b32_e32 v18, 37
	ds_write2_b32 v16, v15, v14 offset1:1
	ds_write_b32 v22, v17 offset:1396
	v_mul_lo_u16_sdwa v14, v3, v18 dst_sel:DWORD dst_unused:UNUSED_PAD src0_sel:BYTE_0 src1_sel:DWORD
	v_sub_u16_sdwa v15, v3, v14 dst_sel:DWORD dst_unused:UNUSED_PAD src0_sel:DWORD src1_sel:BYTE_1
	v_lshrrev_b16_e32 v15, 1, v15
	v_and_b32_e32 v15, 0x7f, v15
	v_add_u16_sdwa v14, v15, v14 dst_sel:DWORD dst_unused:UNUSED_PAD src0_sel:DWORD src1_sel:BYTE_1
	v_lshrrev_b16_e32 v32, 2, v14
	v_mul_lo_u16_e32 v14, 7, v32
	v_sub_u16_e32 v33, v3, v14
	v_mov_b32_e32 v19, 6
	v_mul_u32_u24_sdwa v14, v33, v19 dst_sel:DWORD dst_unused:UNUSED_PAD src0_sel:BYTE_0 src1_sel:DWORD
	v_lshlrev_b32_e32 v26, 2, v14
	s_waitcnt lgkmcnt(0)
	; wave barrier
	s_waitcnt lgkmcnt(0)
	global_load_dwordx4 v[14:17], v26, s[12:13]
	v_add_u16_e32 v20, 49, v3
	v_mul_lo_u16_sdwa v18, v20, v18 dst_sel:DWORD dst_unused:UNUSED_PAD src0_sel:BYTE_0 src1_sel:DWORD
	v_sub_u16_sdwa v21, v20, v18 dst_sel:DWORD dst_unused:UNUSED_PAD src0_sel:DWORD src1_sel:BYTE_1
	v_lshrrev_b16_e32 v21, 1, v21
	v_and_b32_e32 v21, 0x7f, v21
	v_add_u16_sdwa v18, v21, v18 dst_sel:DWORD dst_unused:UNUSED_PAD src0_sel:DWORD src1_sel:BYTE_1
	v_lshrrev_b16_e32 v34, 2, v18
	v_mul_lo_u16_e32 v18, 7, v34
	v_sub_u16_e32 v35, v20, v18
	v_mul_u32_u24_sdwa v18, v35, v19 dst_sel:DWORD dst_unused:UNUSED_PAD src0_sel:BYTE_0 src1_sel:DWORD
	v_lshlrev_b32_e32 v27, 2, v18
	global_load_dwordx4 v[18:21], v27, s[12:13]
	global_load_dwordx2 v[22:23], v26, s[12:13] offset:16
	global_load_dwordx2 v[24:25], v27, s[12:13] offset:16
	ds_read2_b32 v[26:27], v0 offset0:98 offset1:147
	ds_read2_b32 v[28:29], v0 offset0:196 offset1:245
	s_mov_b32 s8, 0xbcab
	s_movk_i32 s9, 0x3574
	s_mov_b32 s14, 0xb9e0
	s_waitcnt lgkmcnt(1)
	v_lshrrev_b32_e32 v30, 16, v26
	s_waitcnt vmcnt(3)
	v_mul_f16_sdwa v31, v14, v26 dst_sel:DWORD dst_unused:UNUSED_PAD src0_sel:WORD_1 src1_sel:DWORD
	v_fma_f16 v36, v14, v30, -v31
	v_mul_f16_sdwa v30, v14, v30 dst_sel:DWORD dst_unused:UNUSED_PAD src0_sel:WORD_1 src1_sel:DWORD
	v_fma_f16 v26, v14, v26, v30
	s_waitcnt lgkmcnt(0)
	v_lshrrev_b32_e32 v14, 16, v28
	ds_read2_b32 v[30:31], v13 offset0:38 offset1:87
	v_mul_f16_sdwa v37, v15, v28 dst_sel:DWORD dst_unused:UNUSED_PAD src0_sel:WORD_1 src1_sel:DWORD
	v_fma_f16 v37, v15, v14, -v37
	v_mul_f16_sdwa v14, v15, v14 dst_sel:DWORD dst_unused:UNUSED_PAD src0_sel:WORD_1 src1_sel:DWORD
	v_fma_f16 v28, v15, v28, v14
	ds_read2_b32 v[14:15], v13 offset0:136 offset1:185
	s_waitcnt lgkmcnt(1)
	v_lshrrev_b32_e32 v38, 16, v30
	v_mul_f16_sdwa v39, v16, v30 dst_sel:DWORD dst_unused:UNUSED_PAD src0_sel:WORD_1 src1_sel:DWORD
	v_fma_f16 v39, v16, v38, -v39
	v_mul_f16_sdwa v38, v16, v38 dst_sel:DWORD dst_unused:UNUSED_PAD src0_sel:WORD_1 src1_sel:DWORD
	v_fma_f16 v30, v16, v30, v38
	s_waitcnt lgkmcnt(0)
	v_lshrrev_b32_e32 v16, 16, v14
	v_mul_f16_sdwa v38, v17, v14 dst_sel:DWORD dst_unused:UNUSED_PAD src0_sel:WORD_1 src1_sel:DWORD
	v_fma_f16 v38, v17, v16, -v38
	v_mul_f16_sdwa v16, v17, v16 dst_sel:DWORD dst_unused:UNUSED_PAD src0_sel:WORD_1 src1_sel:DWORD
	v_fma_f16 v40, v17, v14, v16
	v_lshrrev_b32_e32 v14, 16, v27
	s_waitcnt vmcnt(2)
	v_mul_f16_sdwa v16, v14, v18 dst_sel:DWORD dst_unused:UNUSED_PAD src0_sel:DWORD src1_sel:WORD_1
	v_fma_f16 v41, v27, v18, v16
	v_mul_f16_sdwa v16, v27, v18 dst_sel:DWORD dst_unused:UNUSED_PAD src0_sel:DWORD src1_sel:WORD_1
	v_fma_f16 v18, v14, v18, -v16
	v_lshrrev_b32_e32 v14, 16, v29
	v_mul_f16_sdwa v16, v14, v19 dst_sel:DWORD dst_unused:UNUSED_PAD src0_sel:DWORD src1_sel:WORD_1
	v_fma_f16 v27, v29, v19, v16
	v_mul_f16_sdwa v16, v29, v19 dst_sel:DWORD dst_unused:UNUSED_PAD src0_sel:DWORD src1_sel:WORD_1
	v_fma_f16 v19, v14, v19, -v16
	v_lshrrev_b32_e32 v14, 16, v31
	;; [unrolled: 5-line block ×3, first 2 shown]
	ds_read2_b32 v[16:17], v12 offset0:106 offset1:155
	v_mul_f16_sdwa v31, v14, v21 dst_sel:DWORD dst_unused:UNUSED_PAD src0_sel:DWORD src1_sel:WORD_1
	v_fma_f16 v31, v15, v21, v31
	v_mul_f16_sdwa v15, v15, v21 dst_sel:DWORD dst_unused:UNUSED_PAD src0_sel:DWORD src1_sel:WORD_1
	v_fma_f16 v21, v14, v21, -v15
	ds_read2_b32 v[14:15], v11 offset0:76 offset1:125
	s_waitcnt lgkmcnt(1)
	v_lshrrev_b32_e32 v42, 16, v16
	s_waitcnt vmcnt(1)
	v_mul_f16_sdwa v43, v16, v22 dst_sel:DWORD dst_unused:UNUSED_PAD src0_sel:DWORD src1_sel:WORD_1
	v_fma_f16 v43, v42, v22, -v43
	v_mul_f16_sdwa v42, v42, v22 dst_sel:DWORD dst_unused:UNUSED_PAD src0_sel:DWORD src1_sel:WORD_1
	v_fma_f16 v16, v16, v22, v42
	s_waitcnt lgkmcnt(0)
	v_lshrrev_b32_e32 v22, 16, v14
	v_mul_f16_sdwa v42, v14, v23 dst_sel:DWORD dst_unused:UNUSED_PAD src0_sel:DWORD src1_sel:WORD_1
	v_fma_f16 v42, v22, v23, -v42
	v_mul_f16_sdwa v22, v22, v23 dst_sel:DWORD dst_unused:UNUSED_PAD src0_sel:DWORD src1_sel:WORD_1
	v_fma_f16 v14, v14, v23, v22
	v_lshrrev_b32_e32 v22, 16, v17
	s_waitcnt vmcnt(0)
	v_mul_f16_sdwa v23, v22, v24 dst_sel:DWORD dst_unused:UNUSED_PAD src0_sel:DWORD src1_sel:WORD_1
	v_fma_f16 v23, v17, v24, v23
	v_mul_f16_sdwa v17, v17, v24 dst_sel:DWORD dst_unused:UNUSED_PAD src0_sel:DWORD src1_sel:WORD_1
	v_fma_f16 v17, v22, v24, -v17
	v_lshrrev_b32_e32 v22, 16, v15
	v_mul_f16_sdwa v24, v22, v25 dst_sel:DWORD dst_unused:UNUSED_PAD src0_sel:DWORD src1_sel:WORD_1
	v_fma_f16 v24, v15, v25, v24
	v_mul_f16_sdwa v15, v15, v25 dst_sel:DWORD dst_unused:UNUSED_PAD src0_sel:DWORD src1_sel:WORD_1
	v_fma_f16 v22, v22, v25, -v15
	v_add_f16_e32 v25, v26, v14
	v_sub_f16_e32 v26, v26, v14
	v_mul_u32_u24_e32 v14, 0xc4, v32
	v_mov_b32_e32 v32, 2
	v_lshlrev_b32_sdwa v15, v32, v33 dst_sel:DWORD dst_unused:UNUSED_PAD src0_sel:DWORD src1_sel:BYTE_0
	v_add3_u32 v33, 0, v14, v15
	ds_read2_b32 v[14:15], v0 offset1:49
	v_add_f16_e32 v44, v36, v42
	v_sub_f16_e32 v36, v36, v42
	v_add_f16_e32 v42, v28, v16
	v_sub_f16_e32 v16, v28, v16
	;; [unrolled: 2-line block ×5, first 2 shown]
	v_add_f16_e32 v39, v42, v25
	v_add_f16_e32 v45, v28, v44
	;; [unrolled: 1-line block ×4, first 2 shown]
	s_waitcnt lgkmcnt(0)
	v_add_f16_e32 v46, v39, v14
	v_add_f16_sdwa v14, v45, v14 dst_sel:DWORD dst_unused:UNUSED_PAD src0_sel:DWORD src1_sel:WORD_1
	v_fma_f16 v39, v39, s8, v46
	v_fma_f16 v45, v45, s8, v14
	v_pack_b32_f16 v14, v46, v14
	v_sub_f16_e32 v46, v25, v43
	v_sub_f16_e32 v47, v44, v40
	;; [unrolled: 1-line block ×6, first 2 shown]
	v_add_f16_e32 v48, v30, v16
	v_sub_f16_e32 v30, v26, v30
	v_add_f16_e32 v50, v38, v37
	v_sub_f16_e32 v38, v36, v38
	v_mul_f16_e32 v46, 0x3a52, v46
	v_mul_f16_e32 v47, 0x3a52, v47
	;; [unrolled: 1-line block ×4, first 2 shown]
	v_add_f16_e32 v48, v48, v26
	v_add_f16_e32 v50, v50, v36
	v_fma_f16 v52, v43, s7, v46
	v_fma_f16 v53, v40, s7, v47
	;; [unrolled: 1-line block ×4, first 2 shown]
	v_add_f16_e32 v52, v52, v39
	v_add_f16_e32 v53, v53, v45
	v_fma_f16 v54, v48, s0, v54
	v_fma_f16 v55, v50, s0, v55
	v_add_f16_e32 v56, v55, v52
	v_sub_f16_e32 v57, v53, v54
	v_sub_f16_e32 v16, v16, v26
	v_pack_b32_f16 v56, v56, v57
	v_sub_f16_e32 v26, v37, v36
	v_fma_f16 v37, v16, s5, -v49
	v_mul_f16_e32 v16, 0xbb00, v16
	s_waitcnt lgkmcnt(0)
	; wave barrier
	ds_write2_b32 v33, v14, v56 offset1:7
	v_sub_f16_e32 v14, v42, v25
	v_sub_f16_e32 v25, v28, v44
	v_mul_f16_e32 v28, 0x2b26, v43
	v_mul_f16_e32 v36, 0x2b26, v40
	v_fma_f16 v16, v30, s9, -v16
	v_fma_f16 v30, v26, s5, -v51
	v_mul_f16_e32 v26, 0xbb00, v26
	v_fma_f16 v28, v14, s6, -v28
	v_fma_f16 v14, v14, s14, -v46
	;; [unrolled: 1-line block ×5, first 2 shown]
	v_add_f16_e32 v14, v14, v39
	v_add_f16_e32 v25, v25, v45
	v_fma_f16 v16, v48, s0, v16
	v_fma_f16 v26, v50, s0, v26
	v_add_f16_e32 v28, v28, v39
	v_add_f16_e32 v36, v36, v45
	v_fma_f16 v37, v48, s0, v37
	v_fma_f16 v30, v50, s0, v30
	v_add_f16_e32 v38, v26, v14
	v_sub_f16_e32 v39, v25, v16
	v_pack_b32_f16 v38, v38, v39
	v_sub_f16_e32 v39, v28, v30
	v_add_f16_e32 v28, v30, v28
	v_sub_f16_e32 v30, v36, v37
	v_sub_f16_e32 v14, v14, v26
	v_add_f16_e32 v16, v16, v25
	v_pack_b32_f16 v25, v28, v30
	v_pack_b32_f16 v14, v14, v16
	ds_write2_b32 v33, v25, v14 offset0:28 offset1:35
	v_sub_f16_e32 v14, v52, v55
	v_add_f16_e32 v16, v54, v53
	v_pack_b32_f16 v14, v14, v16
	ds_write_b32 v33, v14 offset:168
	v_add_f16_e32 v14, v41, v24
	v_sub_f16_e32 v16, v41, v24
	v_add_f16_e32 v24, v18, v22
	v_sub_f16_e32 v18, v18, v22
	v_add_f16_e32 v22, v27, v23
	v_add_f16_e32 v25, v19, v17
	v_sub_f16_e32 v23, v27, v23
	v_sub_f16_e32 v17, v19, v17
	v_add_f16_e32 v19, v29, v31
	v_add_f16_e32 v27, v20, v21
	v_sub_f16_e32 v20, v21, v20
	v_add_f16_e32 v21, v22, v14
	v_add_f16_e32 v28, v25, v24
	;; [unrolled: 1-line block ×5, first 2 shown]
	v_pack_b32_f16 v39, v39, v40
	v_sub_f16_e32 v26, v31, v29
	v_add_f16_e32 v29, v21, v15
	v_add_f16_sdwa v15, v28, v15 dst_sel:DWORD dst_unused:UNUSED_PAD src0_sel:DWORD src1_sel:WORD_1
	v_lshlrev_b32_sdwa v30, v32, v35 dst_sel:DWORD dst_unused:UNUSED_PAD src0_sel:DWORD src1_sel:BYTE_0
	v_mul_u32_u24_e32 v31, 0xc4, v34
	ds_write2_b32 v33, v38, v39 offset0:14 offset1:21
	v_add3_u32 v30, 0, v31, v30
	v_fma_f16 v21, v21, s8, v29
	v_fma_f16 v28, v28, s8, v15
	v_pack_b32_f16 v15, v29, v15
	v_sub_f16_e32 v29, v14, v19
	v_sub_f16_e32 v31, v24, v27
	;; [unrolled: 1-line block ×6, first 2 shown]
	v_add_f16_e32 v32, v26, v23
	v_sub_f16_e32 v26, v16, v26
	v_add_f16_e32 v34, v20, v17
	v_sub_f16_e32 v20, v18, v20
	v_mul_f16_e32 v29, 0x3a52, v29
	v_mul_f16_e32 v31, 0x3a52, v31
	;; [unrolled: 1-line block ×4, first 2 shown]
	v_add_f16_e32 v32, v32, v16
	v_add_f16_e32 v34, v34, v18
	v_fma_f16 v36, v19, s7, v29
	v_fma_f16 v37, v27, s7, v31
	;; [unrolled: 1-line block ×4, first 2 shown]
	v_add_f16_e32 v36, v36, v21
	v_add_f16_e32 v37, v37, v28
	v_fma_f16 v38, v32, s0, v38
	v_fma_f16 v39, v34, s0, v39
	v_add_f16_e32 v40, v39, v36
	v_sub_f16_e32 v41, v37, v38
	v_pack_b32_f16 v40, v40, v41
	v_sub_f16_e32 v16, v23, v16
	v_sub_f16_e32 v17, v17, v18
	ds_write2_b32 v30, v15, v40 offset1:7
	v_sub_f16_e32 v14, v22, v14
	v_sub_f16_e32 v15, v25, v24
	v_mul_f16_e32 v18, 0x2b26, v19
	v_mul_f16_e32 v19, 0x2b26, v27
	v_fma_f16 v22, v16, s5, -v33
	v_mul_f16_e32 v16, 0xbb00, v16
	v_fma_f16 v23, v17, s5, -v35
	;; [unrolled: 2-line block ×3, first 2 shown]
	v_fma_f16 v14, v14, s14, -v29
	v_fma_f16 v19, v15, s6, -v19
	;; [unrolled: 1-line block ×5, first 2 shown]
	v_add_f16_e32 v18, v18, v21
	v_add_f16_e32 v14, v14, v21
	;; [unrolled: 1-line block ×4, first 2 shown]
	v_fma_f16 v20, v32, s0, v22
	v_fma_f16 v16, v32, s0, v16
	;; [unrolled: 1-line block ×4, first 2 shown]
	v_sub_f16_e32 v22, v18, v21
	v_add_f16_e32 v18, v21, v18
	v_add_f16_e32 v21, v20, v19
	v_sub_f16_e32 v19, v19, v20
	v_add_f16_e32 v20, v17, v14
	v_sub_f16_e32 v14, v14, v17
	v_sub_f16_e32 v17, v15, v16
	v_add_f16_e32 v15, v16, v15
	v_pack_b32_f16 v17, v20, v17
	v_pack_b32_f16 v20, v22, v21
	v_sub_f16_e32 v16, v36, v39
	v_add_f16_e32 v23, v38, v37
	ds_write2_b32 v30, v17, v20 offset0:14 offset1:21
	v_pack_b32_f16 v17, v18, v19
	v_pack_b32_f16 v14, v14, v15
	ds_write2_b32 v30, v17, v14 offset0:28 offset1:35
	v_pack_b32_f16 v14, v16, v23
	ds_write_b32 v30, v14 offset:168
	v_mul_u32_u24_e32 v14, 6, v3
	v_lshlrev_b32_e32 v20, 2, v14
	s_waitcnt lgkmcnt(0)
	; wave barrier
	s_waitcnt lgkmcnt(0)
	global_load_dwordx4 v[14:17], v20, s[12:13] offset:168
	global_load_dwordx2 v[18:19], v20, s[12:13] offset:184
	ds_read2_b32 v[20:21], v0 offset0:98 offset1:147
	s_waitcnt lgkmcnt(0)
	v_lshrrev_b32_e32 v22, 16, v20
	s_waitcnt vmcnt(1)
	v_mul_f16_sdwa v23, v14, v20 dst_sel:DWORD dst_unused:UNUSED_PAD src0_sel:WORD_1 src1_sel:DWORD
	v_fma_f16 v24, v14, v22, -v23
	v_mul_f16_sdwa v22, v14, v22 dst_sel:DWORD dst_unused:UNUSED_PAD src0_sel:WORD_1 src1_sel:DWORD
	v_fma_f16 v25, v14, v20, v22
	ds_read2_b32 v[22:23], v0 offset0:196 offset1:245
	v_lshrrev_b32_e32 v20, 16, v21
	v_mul_f16_sdwa v26, v20, v14 dst_sel:DWORD dst_unused:UNUSED_PAD src0_sel:DWORD src1_sel:WORD_1
	v_fma_f16 v26, v21, v14, v26
	v_mul_f16_sdwa v21, v21, v14 dst_sel:DWORD dst_unused:UNUSED_PAD src0_sel:DWORD src1_sel:WORD_1
	v_fma_f16 v27, v20, v14, -v21
	s_waitcnt lgkmcnt(0)
	v_lshrrev_b32_e32 v14, 16, v22
	v_mul_f16_sdwa v20, v15, v22 dst_sel:DWORD dst_unused:UNUSED_PAD src0_sel:WORD_1 src1_sel:DWORD
	v_fma_f16 v28, v15, v14, -v20
	ds_read2_b32 v[20:21], v13 offset0:38 offset1:87
	v_mul_f16_sdwa v14, v15, v14 dst_sel:DWORD dst_unused:UNUSED_PAD src0_sel:WORD_1 src1_sel:DWORD
	v_fma_f16 v22, v15, v22, v14
	v_lshrrev_b32_e32 v14, 16, v23
	v_mul_f16_sdwa v29, v14, v15 dst_sel:DWORD dst_unused:UNUSED_PAD src0_sel:DWORD src1_sel:WORD_1
	v_fma_f16 v29, v23, v15, v29
	v_mul_f16_sdwa v23, v23, v15 dst_sel:DWORD dst_unused:UNUSED_PAD src0_sel:DWORD src1_sel:WORD_1
	v_fma_f16 v23, v14, v15, -v23
	s_waitcnt lgkmcnt(0)
	v_lshrrev_b32_e32 v14, 16, v20
	v_mul_f16_sdwa v15, v16, v20 dst_sel:DWORD dst_unused:UNUSED_PAD src0_sel:WORD_1 src1_sel:DWORD
	v_fma_f16 v30, v16, v14, -v15
	v_mul_f16_sdwa v14, v16, v14 dst_sel:DWORD dst_unused:UNUSED_PAD src0_sel:WORD_1 src1_sel:DWORD
	v_fma_f16 v31, v16, v20, v14
	ds_read2_b32 v[14:15], v13 offset0:136 offset1:185
	v_lshrrev_b32_e32 v20, 16, v21
	v_mul_f16_sdwa v32, v20, v16 dst_sel:DWORD dst_unused:UNUSED_PAD src0_sel:DWORD src1_sel:WORD_1
	v_fma_f16 v32, v21, v16, v32
	v_mul_f16_sdwa v21, v21, v16 dst_sel:DWORD dst_unused:UNUSED_PAD src0_sel:DWORD src1_sel:WORD_1
	v_fma_f16 v16, v20, v16, -v21
	s_waitcnt lgkmcnt(0)
	v_lshrrev_b32_e32 v20, 16, v14
	v_mul_f16_sdwa v21, v17, v14 dst_sel:DWORD dst_unused:UNUSED_PAD src0_sel:WORD_1 src1_sel:DWORD
	v_fma_f16 v33, v17, v20, -v21
	v_mul_f16_sdwa v20, v17, v20 dst_sel:DWORD dst_unused:UNUSED_PAD src0_sel:WORD_1 src1_sel:DWORD
	v_fma_f16 v34, v17, v14, v20
	ds_read2_b32 v[20:21], v12 offset0:106 offset1:155
	v_lshrrev_b32_e32 v14, 16, v15
	v_mul_f16_sdwa v35, v14, v17 dst_sel:DWORD dst_unused:UNUSED_PAD src0_sel:DWORD src1_sel:WORD_1
	v_fma_f16 v35, v15, v17, v35
	v_mul_f16_sdwa v15, v15, v17 dst_sel:DWORD dst_unused:UNUSED_PAD src0_sel:DWORD src1_sel:WORD_1
	v_fma_f16 v17, v14, v17, -v15
	s_waitcnt lgkmcnt(0)
	v_lshrrev_b32_e32 v14, 16, v20
	s_waitcnt vmcnt(0)
	v_mul_f16_sdwa v15, v18, v20 dst_sel:DWORD dst_unused:UNUSED_PAD src0_sel:WORD_1 src1_sel:DWORD
	v_fma_f16 v36, v18, v14, -v15
	v_mul_f16_sdwa v14, v18, v14 dst_sel:DWORD dst_unused:UNUSED_PAD src0_sel:WORD_1 src1_sel:DWORD
	v_fma_f16 v20, v18, v20, v14
	ds_read2_b32 v[14:15], v11 offset0:76 offset1:125
	v_lshrrev_b32_e32 v37, 16, v21
	v_mul_f16_sdwa v38, v37, v18 dst_sel:DWORD dst_unused:UNUSED_PAD src0_sel:DWORD src1_sel:WORD_1
	v_fma_f16 v38, v21, v18, v38
	v_mul_f16_sdwa v21, v21, v18 dst_sel:DWORD dst_unused:UNUSED_PAD src0_sel:DWORD src1_sel:WORD_1
	v_fma_f16 v18, v37, v18, -v21
	s_waitcnt lgkmcnt(0)
	v_lshrrev_b32_e32 v21, 16, v14
	v_mul_f16_sdwa v37, v14, v19 dst_sel:DWORD dst_unused:UNUSED_PAD src0_sel:DWORD src1_sel:WORD_1
	v_fma_f16 v37, v21, v19, -v37
	v_mul_f16_sdwa v21, v21, v19 dst_sel:DWORD dst_unused:UNUSED_PAD src0_sel:DWORD src1_sel:WORD_1
	v_fma_f16 v14, v14, v19, v21
	v_lshrrev_b32_e32 v21, 16, v15
	v_mul_f16_sdwa v39, v21, v19 dst_sel:DWORD dst_unused:UNUSED_PAD src0_sel:DWORD src1_sel:WORD_1
	v_fma_f16 v39, v15, v19, v39
	v_mul_f16_sdwa v15, v15, v19 dst_sel:DWORD dst_unused:UNUSED_PAD src0_sel:DWORD src1_sel:WORD_1
	v_fma_f16 v19, v21, v19, -v15
	v_add_f16_e32 v21, v25, v14
	v_sub_f16_e32 v25, v25, v14
	ds_read2_b32 v[14:15], v0 offset1:49
	v_add_f16_e32 v40, v24, v37
	v_sub_f16_e32 v24, v24, v37
	v_add_f16_e32 v37, v22, v20
	v_sub_f16_e32 v20, v22, v20
	;; [unrolled: 2-line block ×5, first 2 shown]
	v_add_f16_e32 v33, v37, v21
	v_add_f16_e32 v41, v22, v40
	v_add_f16_e32 v33, v36, v33
	v_add_f16_e32 v41, v34, v41
	s_waitcnt lgkmcnt(0)
	v_add_f16_e32 v42, v33, v14
	v_add_f16_sdwa v14, v41, v14 dst_sel:DWORD dst_unused:UNUSED_PAD src0_sel:DWORD src1_sel:WORD_1
	v_fma_f16 v33, v33, s8, v42
	v_fma_f16 v41, v41, s8, v14
	v_pack_b32_f16 v14, v42, v14
	v_sub_f16_e32 v42, v21, v36
	v_sub_f16_e32 v43, v40, v34
	;; [unrolled: 1-line block ×6, first 2 shown]
	v_add_f16_e32 v44, v31, v20
	v_sub_f16_e32 v31, v25, v31
	v_add_f16_e32 v46, v30, v28
	v_sub_f16_e32 v30, v24, v30
	v_mul_f16_e32 v42, 0x3a52, v42
	v_mul_f16_e32 v43, 0x3a52, v43
	v_mul_f16_e32 v45, 0x3846, v45
	v_mul_f16_e32 v47, 0x3846, v47
	v_add_f16_e32 v44, v44, v25
	v_add_f16_e32 v46, v46, v24
	v_fma_f16 v48, v36, s7, v42
	v_fma_f16 v49, v34, s7, v43
	;; [unrolled: 1-line block ×4, first 2 shown]
	v_add_f16_e32 v48, v48, v33
	v_add_f16_e32 v49, v49, v41
	v_fma_f16 v50, v44, s0, v50
	v_fma_f16 v51, v46, s0, v51
	v_add_f16_e32 v52, v51, v48
	v_sub_f16_e32 v53, v49, v50
	v_pack_b32_f16 v52, v52, v53
	v_sub_f16_e32 v20, v20, v25
	s_waitcnt lgkmcnt(0)
	; wave barrier
	ds_write2_b32 v0, v14, v52 offset1:49
	v_sub_f16_e32 v14, v37, v21
	v_sub_f16_e32 v21, v22, v40
	;; [unrolled: 1-line block ×3, first 2 shown]
	v_fma_f16 v28, v20, s5, -v45
	v_mul_f16_e32 v20, 0xbb00, v20
	v_mul_f16_e32 v24, 0x2b26, v36
	;; [unrolled: 1-line block ×3, first 2 shown]
	v_fma_f16 v20, v31, s9, -v20
	v_fma_f16 v31, v22, s5, -v47
	v_mul_f16_e32 v22, 0xbb00, v22
	v_fma_f16 v24, v14, s6, -v24
	v_fma_f16 v14, v14, s14, -v42
	;; [unrolled: 1-line block ×5, first 2 shown]
	v_add_f16_e32 v14, v14, v33
	v_add_f16_e32 v21, v21, v41
	v_fma_f16 v20, v44, s0, v20
	v_fma_f16 v22, v46, s0, v22
	v_add_f16_e32 v24, v24, v33
	v_add_f16_e32 v25, v25, v41
	v_fma_f16 v28, v44, s0, v28
	v_fma_f16 v30, v46, s0, v31
	v_add_f16_e32 v31, v22, v14
	v_sub_f16_e32 v33, v21, v20
	v_pack_b32_f16 v31, v31, v33
	v_sub_f16_e32 v33, v24, v30
	v_add_f16_e32 v34, v28, v25
	v_add_f16_e32 v24, v30, v24
	v_sub_f16_e32 v25, v25, v28
	v_sub_f16_e32 v14, v14, v22
	v_add_f16_e32 v20, v20, v21
	v_pack_b32_f16 v21, v24, v25
	v_pack_b32_f16 v14, v14, v20
	;; [unrolled: 1-line block ×3, first 2 shown]
	ds_write2_b32 v0, v21, v14 offset0:196 offset1:245
	v_add_f16_e32 v21, v26, v39
	v_add_f16_e32 v22, v29, v38
	;; [unrolled: 1-line block ×4, first 2 shown]
	ds_write2_b32 v0, v31, v33 offset0:98 offset1:147
	v_add_f16_e32 v24, v32, v35
	v_add_f16_e32 v25, v22, v21
	;; [unrolled: 1-line block ×6, first 2 shown]
	v_sub_f16_e32 v14, v48, v51
	v_add_f16_e32 v20, v50, v49
	v_add_f16_e32 v34, v25, v15
	v_add_f16_sdwa v15, v33, v15 dst_sel:DWORD dst_unused:UNUSED_PAD src0_sel:DWORD src1_sel:WORD_1
	v_pack_b32_f16 v14, v14, v20
	v_pack_b32_f16 v20, v34, v15
	ds_write2_b32 v13, v14, v20 offset0:38 offset1:87
	v_sub_f16_e32 v20, v29, v38
	v_sub_f16_e32 v18, v23, v18
	;; [unrolled: 1-line block ×10, first 2 shown]
	v_add_f16_e32 v28, v23, v20
	v_sub_f16_e32 v19, v27, v19
	v_sub_f16_e32 v29, v23, v20
	;; [unrolled: 1-line block ×4, first 2 shown]
	v_add_f16_e32 v14, v28, v14
	v_add_f16_e32 v28, v16, v18
	v_sub_f16_e32 v27, v31, v30
	v_sub_f16_e32 v30, v16, v18
	v_sub_f16_e32 v16, v19, v16
	v_sub_f16_e32 v18, v18, v19
	v_add_f16_e32 v19, v28, v19
	v_mul_f16_e32 v21, 0x3a52, v21
	v_mul_f16_e32 v28, 0x2b26, v22
	v_fma_f16 v22, v22, s7, v21
	v_fma_f16 v28, v17, s6, -v28
	v_fma_f16 v17, v17, s14, -v21
	v_mul_f16_e32 v21, 0x3a52, v26
	v_mul_f16_e32 v26, 0x2b26, v27
	v_fma_f16 v27, v27, s7, v21
	v_fma_f16 v26, v24, s6, -v26
	v_fma_f16 v21, v24, s14, -v21
	v_mul_f16_e32 v24, 0x3846, v29
	v_mul_f16_e32 v29, 0xbb00, v20
	v_fma_f16 v20, v20, s5, -v24
	v_fma_f16 v24, v23, s1, v24
	v_fma_f16 v23, v23, s9, -v29
	v_mul_f16_e32 v29, 0x3846, v30
	v_mul_f16_e32 v30, 0xbb00, v18
	v_fma_f16 v25, v25, s8, v34
	v_fma_f16 v15, v33, s8, v15
	v_fma_f16 v18, v18, s5, -v29
	v_fma_f16 v29, v16, s1, v29
	v_fma_f16 v16, v16, s9, -v30
	v_add_f16_e32 v22, v22, v25
	v_add_f16_e32 v28, v28, v25
	;; [unrolled: 1-line block ×6, first 2 shown]
	v_fma_f16 v21, v14, s0, v24
	v_fma_f16 v20, v14, s0, v20
	;; [unrolled: 1-line block ×6, first 2 shown]
	v_add_f16_e32 v24, v20, v26
	v_sub_f16_e32 v20, v26, v20
	v_add_f16_e32 v26, v16, v17
	v_sub_f16_e32 v16, v17, v16
	v_sub_f16_e32 v17, v15, v14
	v_add_f16_e32 v14, v14, v15
	v_add_f16_e32 v15, v23, v22
	v_sub_f16_e32 v22, v22, v23
	v_sub_f16_e32 v23, v25, v21
	;; [unrolled: 1-line block ×3, first 2 shown]
	v_add_f16_e32 v18, v18, v28
	v_pack_b32_f16 v15, v15, v23
	v_pack_b32_f16 v17, v26, v17
	v_add_f16_e32 v21, v21, v25
	ds_write2_b32 v13, v15, v17 offset0:136 offset1:185
	v_pack_b32_f16 v15, v19, v24
	v_pack_b32_f16 v17, v18, v20
	ds_write2_b32 v12, v15, v17 offset0:106 offset1:155
	v_pack_b32_f16 v14, v16, v14
	v_pack_b32_f16 v15, v22, v21
	ds_write2_b32 v11, v14, v15 offset0:76 offset1:125
	v_mov_b32_e32 v14, s13
	v_add_co_u32_e64 v9, s[0:1], s12, v9
	v_addc_co_u32_e64 v10, s[0:1], v14, v10, s[0:1]
	s_waitcnt lgkmcnt(0)
	; wave barrier
	s_waitcnt lgkmcnt(0)
	global_load_dword v14, v[9:10], off offset:1540
	global_load_dword v15, v[9:10], off offset:1736
	;; [unrolled: 1-line block ×6, first 2 shown]
	v_mov_b32_e32 v9, s13
	v_add_co_u32_e64 v7, s[0:1], s12, v7
	v_addc_co_u32_e64 v8, s[0:1], v9, v8, s[0:1]
	global_load_dword v20, v[7:8], off offset:1344
	ds_read2_b32 v[7:8], v13 offset0:136 offset1:185
	s_waitcnt vmcnt(6) lgkmcnt(0)
	v_pk_mul_f16 v9, v14, v7 op_sel:[0,1]
	v_pk_fma_f16 v21, v14, v7, v9 op_sel:[0,0,1] op_sel_hi:[1,1,0]
	v_pk_fma_f16 v14, v14, v7, v9 op_sel:[0,0,1] op_sel_hi:[1,0,0] neg_lo:[1,0,0] neg_hi:[1,0,0]
	ds_read2_b32 v[9:10], v12 offset0:106 offset1:155
	s_waitcnt vmcnt(5)
	v_pk_mul_f16 v7, v15, v8 op_sel:[0,1]
	v_pk_fma_f16 v22, v15, v8, v7 op_sel:[0,0,1] op_sel_hi:[1,1,0]
	v_pk_fma_f16 v23, v15, v8, v7 op_sel:[0,0,1] op_sel_hi:[1,0,0] neg_lo:[1,0,0] neg_hi:[1,0,0]
	ds_read_u16 v15, v0 offset:2158
	ds_read2_b32 v[7:8], v11 offset0:76 offset1:125
	s_waitcnt vmcnt(4) lgkmcnt(2)
	v_pk_mul_f16 v24, v16, v9 op_sel:[0,1]
	v_pk_fma_f16 v25, v16, v9, v24 op_sel:[0,0,1] op_sel_hi:[1,1,0]
	v_pk_fma_f16 v16, v16, v9, v24 op_sel:[0,0,1] op_sel_hi:[1,0,0] neg_lo:[1,0,0] neg_hi:[1,0,0]
	s_waitcnt vmcnt(3) lgkmcnt(1)
	v_pk_mul_f16 v9, v15, v17 op_sel_hi:[0,1]
	s_waitcnt vmcnt(2) lgkmcnt(0)
	v_pk_mul_f16 v15, v7, v18 op_sel:[0,1]
	v_pk_fma_f16 v24, v17, v10, v9 op_sel:[0,0,1] op_sel_hi:[1,1,0]
	v_pk_fma_f16 v17, v17, v10, v9 op_sel:[0,0,1] op_sel_hi:[1,0,0] neg_lo:[1,0,0] neg_hi:[1,0,0]
	v_pk_fma_f16 v26, v7, v18, v15 op_sel:[0,0,1] op_sel_hi:[1,1,0]
	ds_read2_b32 v[9:10], v13 offset0:38 offset1:87
	v_pk_fma_f16 v18, v7, v18, v15 op_sel:[0,0,1] op_sel_hi:[1,0,0] neg_lo:[0,0,1] neg_hi:[0,0,1]
	s_waitcnt vmcnt(1)
	v_pk_mul_f16 v7, v8, v19 op_sel:[0,1]
	v_pk_fma_f16 v27, v8, v19, v7 op_sel:[0,0,1] op_sel_hi:[1,1,0]
	v_pk_fma_f16 v19, v8, v19, v7 op_sel:[0,0,1] op_sel_hi:[1,0,0] neg_lo:[0,0,1] neg_hi:[0,0,1]
	ds_read2_b32 v[7:8], v0 offset1:49
	s_waitcnt vmcnt(0) lgkmcnt(1)
	v_pk_mul_f16 v15, v20, v10 op_sel:[0,1]
	v_bfi_b32 v14, s4, v21, v14
	v_pk_fma_f16 v28, v20, v10, v15 op_sel:[0,0,1] op_sel_hi:[1,1,0]
	v_pk_fma_f16 v10, v20, v10, v15 op_sel:[0,0,1] op_sel_hi:[1,0,0] neg_lo:[1,0,0] neg_hi:[1,0,0]
	s_waitcnt lgkmcnt(0)
	v_pk_add_f16 v20, v8, v14 neg_lo:[0,1] neg_hi:[0,1]
	ds_read2_b32 v[14:15], v0 offset0:98 offset1:147
	v_bfi_b32 v10, s4, v28, v10
	v_pk_add_f16 v10, v7, v10 neg_lo:[0,1] neg_hi:[0,1]
	v_pk_fma_f16 v21, v7, 2.0, v10 op_sel_hi:[1,0,1] neg_lo:[0,0,1] neg_hi:[0,0,1]
	v_pk_fma_f16 v28, v8, 2.0, v20 op_sel_hi:[1,0,1] neg_lo:[0,0,1] neg_hi:[0,0,1]
	v_bfi_b32 v7, s4, v22, v23
	v_bfi_b32 v8, s4, v25, v16
	s_waitcnt lgkmcnt(0)
	v_pk_add_f16 v16, v14, v7 neg_lo:[0,1] neg_hi:[0,1]
	v_pk_add_f16 v22, v15, v8 neg_lo:[0,1] neg_hi:[0,1]
	ds_read2_b32 v[7:8], v0 offset0:196 offset1:245
	v_bfi_b32 v17, s4, v24, v17
	v_bfi_b32 v18, s4, v26, v18
	;; [unrolled: 1-line block ×3, first 2 shown]
	v_pk_add_f16 v19, v9, v19 neg_lo:[0,1] neg_hi:[0,1]
	s_waitcnt lgkmcnt(0)
	v_pk_add_f16 v17, v7, v17 neg_lo:[0,1] neg_hi:[0,1]
	v_pk_add_f16 v18, v8, v18 neg_lo:[0,1] neg_hi:[0,1]
	v_pk_fma_f16 v14, v14, 2.0, v16 op_sel_hi:[1,0,1] neg_lo:[0,0,1] neg_hi:[0,0,1]
	v_pk_fma_f16 v15, v15, 2.0, v22 op_sel_hi:[1,0,1] neg_lo:[0,0,1] neg_hi:[0,0,1]
	;; [unrolled: 1-line block ×5, first 2 shown]
	s_waitcnt lgkmcnt(0)
	; wave barrier
	ds_write2_b32 v0, v21, v28 offset1:49
	ds_write2_b32 v13, v20, v16 offset0:136 offset1:185
	ds_write2_b32 v0, v14, v15 offset0:98 offset1:147
	;; [unrolled: 1-line block ×6, first 2 shown]
	s_waitcnt lgkmcnt(0)
	; wave barrier
	s_waitcnt lgkmcnt(0)
	s_and_saveexec_b64 s[0:1], vcc
	s_cbranch_execz .LBB0_21
; %bb.20:
	v_mul_lo_u32 v0, s3, v5
	v_mul_lo_u32 v7, s2, v6
	v_mad_u64_u32 v[5:6], s[0:1], s2, v5, 0
	v_lshl_add_u32 v9, v3, 2, 0
	v_add3_u32 v6, v6, v7, v0
	v_lshlrev_b64 v[5:6], 2, v[5:6]
	v_mov_b32_e32 v0, s11
	v_add_co_u32_e32 v5, vcc, s10, v5
	v_addc_co_u32_e32 v6, vcc, v0, v6, vcc
	v_lshlrev_b64 v[0:1], 2, v[1:2]
	ds_read2_b32 v[7:8], v9 offset1:49
	v_add_co_u32_e32 v2, vcc, v5, v0
	v_addc_co_u32_e32 v10, vcc, v6, v1, vcc
	v_lshlrev_b64 v[0:1], 2, v[3:4]
	ds_read2_b32 v[5:6], v9 offset0:98 offset1:147
	v_add_co_u32_e32 v0, vcc, v2, v0
	v_addc_co_u32_e32 v1, vcc, v10, v1, vcc
	s_waitcnt lgkmcnt(1)
	global_store_dword v[0:1], v7, off
	v_add_u32_e32 v0, 49, v3
	v_mov_b32_e32 v1, v4
	v_lshlrev_b64 v[0:1], 2, v[0:1]
	v_add_u32_e32 v7, 0x400, v9
	v_add_co_u32_e32 v0, vcc, v2, v0
	v_addc_co_u32_e32 v1, vcc, v10, v1, vcc
	global_store_dword v[0:1], v8, off
	v_add_u32_e32 v0, 0x62, v3
	v_mov_b32_e32 v1, v4
	v_lshlrev_b64 v[0:1], 2, v[0:1]
	v_add_co_u32_e32 v0, vcc, v2, v0
	v_addc_co_u32_e32 v1, vcc, v10, v1, vcc
	s_waitcnt lgkmcnt(0)
	global_store_dword v[0:1], v5, off
	v_add_u32_e32 v0, 0x93, v3
	v_mov_b32_e32 v1, v4
	v_lshlrev_b64 v[0:1], 2, v[0:1]
	v_add_co_u32_e32 v0, vcc, v2, v0
	v_addc_co_u32_e32 v1, vcc, v10, v1, vcc
	global_store_dword v[0:1], v6, off
	v_add_u32_e32 v0, 0xc4, v3
	v_mov_b32_e32 v1, v4
	ds_read2_b32 v[5:6], v9 offset0:196 offset1:245
	v_lshlrev_b64 v[0:1], 2, v[0:1]
	v_add_co_u32_e32 v0, vcc, v2, v0
	v_addc_co_u32_e32 v1, vcc, v10, v1, vcc
	s_waitcnt lgkmcnt(0)
	global_store_dword v[0:1], v5, off
	v_add_u32_e32 v0, 0xf5, v3
	v_mov_b32_e32 v1, v4
	v_lshlrev_b64 v[0:1], 2, v[0:1]
	v_add_co_u32_e32 v0, vcc, v2, v0
	v_addc_co_u32_e32 v1, vcc, v10, v1, vcc
	global_store_dword v[0:1], v6, off
	v_add_u32_e32 v0, 0x126, v3
	v_mov_b32_e32 v1, v4
	ds_read2_b32 v[5:6], v7 offset0:38 offset1:87
	;; [unrolled: 14-line block ×3, first 2 shown]
	v_lshlrev_b64 v[0:1], 2, v[0:1]
	v_add_co_u32_e32 v0, vcc, v2, v0
	v_addc_co_u32_e32 v1, vcc, v10, v1, vcc
	s_waitcnt lgkmcnt(0)
	global_store_dword v[0:1], v5, off
	v_add_u32_e32 v0, 0x1b9, v3
	v_mov_b32_e32 v1, v4
	v_lshlrev_b64 v[0:1], 2, v[0:1]
	v_add_u32_e32 v5, 0x600, v9
	v_add_co_u32_e32 v0, vcc, v2, v0
	v_addc_co_u32_e32 v1, vcc, v10, v1, vcc
	global_store_dword v[0:1], v6, off
	v_add_u32_e32 v0, 0x1ea, v3
	v_mov_b32_e32 v1, v4
	ds_read2_b32 v[5:6], v5 offset0:106 offset1:155
	v_lshlrev_b64 v[0:1], 2, v[0:1]
	v_add_co_u32_e32 v0, vcc, v2, v0
	v_addc_co_u32_e32 v1, vcc, v10, v1, vcc
	s_waitcnt lgkmcnt(0)
	global_store_dword v[0:1], v5, off
	v_add_u32_e32 v0, 0x21b, v3
	v_mov_b32_e32 v1, v4
	v_lshlrev_b64 v[0:1], 2, v[0:1]
	v_add_u32_e32 v5, 0x800, v9
	v_add_co_u32_e32 v0, vcc, v2, v0
	v_addc_co_u32_e32 v1, vcc, v10, v1, vcc
	global_store_dword v[0:1], v6, off
	v_add_u32_e32 v0, 0x24c, v3
	v_mov_b32_e32 v1, v4
	ds_read2_b32 v[5:6], v5 offset0:76 offset1:125
	v_lshlrev_b64 v[0:1], 2, v[0:1]
	v_add_u32_e32 v3, 0x27d, v3
	v_add_co_u32_e32 v0, vcc, v2, v0
	v_addc_co_u32_e32 v1, vcc, v10, v1, vcc
	s_waitcnt lgkmcnt(0)
	global_store_dword v[0:1], v5, off
	v_lshlrev_b64 v[0:1], 2, v[3:4]
	v_add_co_u32_e32 v0, vcc, v2, v0
	v_addc_co_u32_e32 v1, vcc, v10, v1, vcc
	global_store_dword v[0:1], v6, off
.LBB0_21:
	s_endpgm
	.section	.rodata,"a",@progbits
	.p2align	6, 0x0
	.amdhsa_kernel fft_rtc_back_len686_factors_7_7_7_2_wgs_49_tpt_49_half_op_CI_CI_unitstride_sbrr_C2R_dirReg
		.amdhsa_group_segment_fixed_size 0
		.amdhsa_private_segment_fixed_size 0
		.amdhsa_kernarg_size 104
		.amdhsa_user_sgpr_count 6
		.amdhsa_user_sgpr_private_segment_buffer 1
		.amdhsa_user_sgpr_dispatch_ptr 0
		.amdhsa_user_sgpr_queue_ptr 0
		.amdhsa_user_sgpr_kernarg_segment_ptr 1
		.amdhsa_user_sgpr_dispatch_id 0
		.amdhsa_user_sgpr_flat_scratch_init 0
		.amdhsa_user_sgpr_private_segment_size 0
		.amdhsa_uses_dynamic_stack 0
		.amdhsa_system_sgpr_private_segment_wavefront_offset 0
		.amdhsa_system_sgpr_workgroup_id_x 1
		.amdhsa_system_sgpr_workgroup_id_y 0
		.amdhsa_system_sgpr_workgroup_id_z 0
		.amdhsa_system_sgpr_workgroup_info 0
		.amdhsa_system_vgpr_workitem_id 0
		.amdhsa_next_free_vgpr 58
		.amdhsa_next_free_sgpr 28
		.amdhsa_reserve_vcc 1
		.amdhsa_reserve_flat_scratch 0
		.amdhsa_float_round_mode_32 0
		.amdhsa_float_round_mode_16_64 0
		.amdhsa_float_denorm_mode_32 3
		.amdhsa_float_denorm_mode_16_64 3
		.amdhsa_dx10_clamp 1
		.amdhsa_ieee_mode 1
		.amdhsa_fp16_overflow 0
		.amdhsa_exception_fp_ieee_invalid_op 0
		.amdhsa_exception_fp_denorm_src 0
		.amdhsa_exception_fp_ieee_div_zero 0
		.amdhsa_exception_fp_ieee_overflow 0
		.amdhsa_exception_fp_ieee_underflow 0
		.amdhsa_exception_fp_ieee_inexact 0
		.amdhsa_exception_int_div_zero 0
	.end_amdhsa_kernel
	.text
.Lfunc_end0:
	.size	fft_rtc_back_len686_factors_7_7_7_2_wgs_49_tpt_49_half_op_CI_CI_unitstride_sbrr_C2R_dirReg, .Lfunc_end0-fft_rtc_back_len686_factors_7_7_7_2_wgs_49_tpt_49_half_op_CI_CI_unitstride_sbrr_C2R_dirReg
                                        ; -- End function
	.section	.AMDGPU.csdata,"",@progbits
; Kernel info:
; codeLenInByte = 8628
; NumSgprs: 32
; NumVgprs: 58
; ScratchSize: 0
; MemoryBound: 0
; FloatMode: 240
; IeeeMode: 1
; LDSByteSize: 0 bytes/workgroup (compile time only)
; SGPRBlocks: 3
; VGPRBlocks: 14
; NumSGPRsForWavesPerEU: 32
; NumVGPRsForWavesPerEU: 58
; Occupancy: 4
; WaveLimiterHint : 1
; COMPUTE_PGM_RSRC2:SCRATCH_EN: 0
; COMPUTE_PGM_RSRC2:USER_SGPR: 6
; COMPUTE_PGM_RSRC2:TRAP_HANDLER: 0
; COMPUTE_PGM_RSRC2:TGID_X_EN: 1
; COMPUTE_PGM_RSRC2:TGID_Y_EN: 0
; COMPUTE_PGM_RSRC2:TGID_Z_EN: 0
; COMPUTE_PGM_RSRC2:TIDIG_COMP_CNT: 0
	.type	__hip_cuid_625a9652df3659ef,@object ; @__hip_cuid_625a9652df3659ef
	.section	.bss,"aw",@nobits
	.globl	__hip_cuid_625a9652df3659ef
__hip_cuid_625a9652df3659ef:
	.byte	0                               ; 0x0
	.size	__hip_cuid_625a9652df3659ef, 1

	.ident	"AMD clang version 19.0.0git (https://github.com/RadeonOpenCompute/llvm-project roc-6.4.0 25133 c7fe45cf4b819c5991fe208aaa96edf142730f1d)"
	.section	".note.GNU-stack","",@progbits
	.addrsig
	.addrsig_sym __hip_cuid_625a9652df3659ef
	.amdgpu_metadata
---
amdhsa.kernels:
  - .args:
      - .actual_access:  read_only
        .address_space:  global
        .offset:         0
        .size:           8
        .value_kind:     global_buffer
      - .offset:         8
        .size:           8
        .value_kind:     by_value
      - .actual_access:  read_only
        .address_space:  global
        .offset:         16
        .size:           8
        .value_kind:     global_buffer
      - .actual_access:  read_only
        .address_space:  global
        .offset:         24
        .size:           8
        .value_kind:     global_buffer
      - .actual_access:  read_only
        .address_space:  global
        .offset:         32
        .size:           8
        .value_kind:     global_buffer
      - .offset:         40
        .size:           8
        .value_kind:     by_value
      - .actual_access:  read_only
        .address_space:  global
        .offset:         48
        .size:           8
        .value_kind:     global_buffer
      - .actual_access:  read_only
        .address_space:  global
        .offset:         56
        .size:           8
        .value_kind:     global_buffer
      - .offset:         64
        .size:           4
        .value_kind:     by_value
      - .actual_access:  read_only
        .address_space:  global
        .offset:         72
        .size:           8
        .value_kind:     global_buffer
      - .actual_access:  read_only
        .address_space:  global
        .offset:         80
        .size:           8
        .value_kind:     global_buffer
      - .actual_access:  read_only
        .address_space:  global
        .offset:         88
        .size:           8
        .value_kind:     global_buffer
      - .actual_access:  write_only
        .address_space:  global
        .offset:         96
        .size:           8
        .value_kind:     global_buffer
    .group_segment_fixed_size: 0
    .kernarg_segment_align: 8
    .kernarg_segment_size: 104
    .language:       OpenCL C
    .language_version:
      - 2
      - 0
    .max_flat_workgroup_size: 49
    .name:           fft_rtc_back_len686_factors_7_7_7_2_wgs_49_tpt_49_half_op_CI_CI_unitstride_sbrr_C2R_dirReg
    .private_segment_fixed_size: 0
    .sgpr_count:     32
    .sgpr_spill_count: 0
    .symbol:         fft_rtc_back_len686_factors_7_7_7_2_wgs_49_tpt_49_half_op_CI_CI_unitstride_sbrr_C2R_dirReg.kd
    .uniform_work_group_size: 1
    .uses_dynamic_stack: false
    .vgpr_count:     58
    .vgpr_spill_count: 0
    .wavefront_size: 64
amdhsa.target:   amdgcn-amd-amdhsa--gfx906
amdhsa.version:
  - 1
  - 2
...

	.end_amdgpu_metadata
